;; amdgpu-corpus repo=ROCm/rocFFT kind=compiled arch=gfx1100 opt=O3
	.text
	.amdgcn_target "amdgcn-amd-amdhsa--gfx1100"
	.amdhsa_code_object_version 6
	.protected	fft_rtc_fwd_len297_factors_9_3_11_wgs_231_tpt_33_halfLds_half_ip_CI_unitstride_sbrr_dirReg ; -- Begin function fft_rtc_fwd_len297_factors_9_3_11_wgs_231_tpt_33_halfLds_half_ip_CI_unitstride_sbrr_dirReg
	.globl	fft_rtc_fwd_len297_factors_9_3_11_wgs_231_tpt_33_halfLds_half_ip_CI_unitstride_sbrr_dirReg
	.p2align	8
	.type	fft_rtc_fwd_len297_factors_9_3_11_wgs_231_tpt_33_halfLds_half_ip_CI_unitstride_sbrr_dirReg,@function
fft_rtc_fwd_len297_factors_9_3_11_wgs_231_tpt_33_halfLds_half_ip_CI_unitstride_sbrr_dirReg: ; @fft_rtc_fwd_len297_factors_9_3_11_wgs_231_tpt_33_halfLds_half_ip_CI_unitstride_sbrr_dirReg
; %bb.0:
	s_load_b128 s[4:7], s[0:1], 0x0
	v_mul_u32_u24_e32 v1, 0x7c2, v0
	s_clause 0x1
	s_load_b64 s[8:9], s[0:1], 0x50
	s_load_b64 s[10:11], s[0:1], 0x18
	v_mov_b32_e32 v6, 0
	v_lshrrev_b32_e32 v2, 16, v1
	v_mov_b32_e32 v1, 0
	s_delay_alu instid0(VALU_DEP_2) | instskip(NEXT) | instid1(VALU_DEP_2)
	v_mad_u64_u32 v[4:5], null, s15, 7, v[2:3]
	v_mov_b32_e32 v5, v1
	s_delay_alu instid0(VALU_DEP_2) | instskip(SKIP_2) | instid1(VALU_DEP_3)
	v_dual_mov_b32 v7, 0 :: v_dual_mov_b32 v2, v4
	s_waitcnt lgkmcnt(0)
	v_cmp_lt_u64_e64 s2, s[6:7], 2
	v_mov_b32_e32 v3, v5
	s_delay_alu instid0(VALU_DEP_2)
	s_and_b32 vcc_lo, exec_lo, s2
	s_cbranch_vccnz .LBB0_8
; %bb.1:
	s_load_b64 s[2:3], s[0:1], 0x10
	v_dual_mov_b32 v6, 0 :: v_dual_mov_b32 v9, v5
	s_add_u32 s12, s10, 8
	v_dual_mov_b32 v7, 0 :: v_dual_mov_b32 v8, v4
	s_addc_u32 s13, s11, 0
	s_mov_b64 s[16:17], 1
	s_waitcnt lgkmcnt(0)
	s_add_u32 s14, s2, 8
	s_addc_u32 s15, s3, 0
.LBB0_2:                                ; =>This Inner Loop Header: Depth=1
	s_load_b64 s[18:19], s[14:15], 0x0
	s_waitcnt lgkmcnt(0)
	s_delay_alu instid0(VALU_DEP_1) | instskip(NEXT) | instid1(VALU_DEP_1)
	v_or_b32_e32 v2, s19, v9
	v_cmp_ne_u64_e32 vcc_lo, 0, v[1:2]
                                        ; implicit-def: $vgpr2_vgpr3
	s_and_saveexec_b32 s2, vcc_lo
	s_delay_alu instid0(SALU_CYCLE_1)
	s_xor_b32 s3, exec_lo, s2
	s_cbranch_execz .LBB0_4
; %bb.3:                                ;   in Loop: Header=BB0_2 Depth=1
	v_cvt_f32_u32_e32 v2, s18
	v_cvt_f32_u32_e32 v3, s19
	s_sub_u32 s2, 0, s18
	s_subb_u32 s20, 0, s19
	s_delay_alu instid0(VALU_DEP_1) | instskip(NEXT) | instid1(VALU_DEP_1)
	v_fmac_f32_e32 v2, 0x4f800000, v3
	v_rcp_f32_e32 v2, v2
	s_waitcnt_depctr 0xfff
	v_mul_f32_e32 v2, 0x5f7ffffc, v2
	s_delay_alu instid0(VALU_DEP_1) | instskip(NEXT) | instid1(VALU_DEP_1)
	v_mul_f32_e32 v3, 0x2f800000, v2
	v_trunc_f32_e32 v3, v3
	s_delay_alu instid0(VALU_DEP_1) | instskip(SKIP_1) | instid1(VALU_DEP_2)
	v_fmac_f32_e32 v2, 0xcf800000, v3
	v_cvt_u32_f32_e32 v3, v3
	v_cvt_u32_f32_e32 v2, v2
	s_delay_alu instid0(VALU_DEP_2) | instskip(NEXT) | instid1(VALU_DEP_2)
	v_mul_lo_u32 v5, s2, v3
	v_mul_hi_u32 v10, s2, v2
	v_mul_lo_u32 v11, s20, v2
	s_delay_alu instid0(VALU_DEP_2) | instskip(SKIP_1) | instid1(VALU_DEP_2)
	v_add_nc_u32_e32 v5, v10, v5
	v_mul_lo_u32 v10, s2, v2
	v_add_nc_u32_e32 v5, v5, v11
	s_delay_alu instid0(VALU_DEP_2) | instskip(NEXT) | instid1(VALU_DEP_2)
	v_mul_hi_u32 v11, v2, v10
	v_mul_lo_u32 v12, v2, v5
	v_mul_hi_u32 v13, v2, v5
	v_mul_hi_u32 v14, v3, v10
	v_mul_lo_u32 v10, v3, v10
	v_mul_hi_u32 v15, v3, v5
	v_mul_lo_u32 v5, v3, v5
	v_add_co_u32 v11, vcc_lo, v11, v12
	v_add_co_ci_u32_e32 v12, vcc_lo, 0, v13, vcc_lo
	s_delay_alu instid0(VALU_DEP_2) | instskip(NEXT) | instid1(VALU_DEP_2)
	v_add_co_u32 v10, vcc_lo, v11, v10
	v_add_co_ci_u32_e32 v10, vcc_lo, v12, v14, vcc_lo
	v_add_co_ci_u32_e32 v11, vcc_lo, 0, v15, vcc_lo
	s_delay_alu instid0(VALU_DEP_2) | instskip(NEXT) | instid1(VALU_DEP_2)
	v_add_co_u32 v5, vcc_lo, v10, v5
	v_add_co_ci_u32_e32 v10, vcc_lo, 0, v11, vcc_lo
	s_delay_alu instid0(VALU_DEP_2) | instskip(NEXT) | instid1(VALU_DEP_2)
	v_add_co_u32 v2, vcc_lo, v2, v5
	v_add_co_ci_u32_e32 v3, vcc_lo, v3, v10, vcc_lo
	s_delay_alu instid0(VALU_DEP_2) | instskip(SKIP_1) | instid1(VALU_DEP_3)
	v_mul_hi_u32 v5, s2, v2
	v_mul_lo_u32 v11, s20, v2
	v_mul_lo_u32 v10, s2, v3
	s_delay_alu instid0(VALU_DEP_1) | instskip(SKIP_1) | instid1(VALU_DEP_2)
	v_add_nc_u32_e32 v5, v5, v10
	v_mul_lo_u32 v10, s2, v2
	v_add_nc_u32_e32 v5, v5, v11
	s_delay_alu instid0(VALU_DEP_2) | instskip(NEXT) | instid1(VALU_DEP_2)
	v_mul_hi_u32 v11, v2, v10
	v_mul_lo_u32 v12, v2, v5
	v_mul_hi_u32 v13, v2, v5
	v_mul_hi_u32 v14, v3, v10
	v_mul_lo_u32 v10, v3, v10
	v_mul_hi_u32 v15, v3, v5
	v_mul_lo_u32 v5, v3, v5
	v_add_co_u32 v11, vcc_lo, v11, v12
	v_add_co_ci_u32_e32 v12, vcc_lo, 0, v13, vcc_lo
	s_delay_alu instid0(VALU_DEP_2) | instskip(NEXT) | instid1(VALU_DEP_2)
	v_add_co_u32 v10, vcc_lo, v11, v10
	v_add_co_ci_u32_e32 v10, vcc_lo, v12, v14, vcc_lo
	v_add_co_ci_u32_e32 v11, vcc_lo, 0, v15, vcc_lo
	s_delay_alu instid0(VALU_DEP_2) | instskip(NEXT) | instid1(VALU_DEP_2)
	v_add_co_u32 v5, vcc_lo, v10, v5
	v_add_co_ci_u32_e32 v10, vcc_lo, 0, v11, vcc_lo
	s_delay_alu instid0(VALU_DEP_2) | instskip(NEXT) | instid1(VALU_DEP_2)
	v_add_co_u32 v5, vcc_lo, v2, v5
	v_add_co_ci_u32_e32 v14, vcc_lo, v3, v10, vcc_lo
	s_delay_alu instid0(VALU_DEP_2) | instskip(SKIP_1) | instid1(VALU_DEP_3)
	v_mul_hi_u32 v15, v8, v5
	v_mad_u64_u32 v[10:11], null, v9, v5, 0
	v_mad_u64_u32 v[2:3], null, v8, v14, 0
	;; [unrolled: 1-line block ×3, first 2 shown]
	s_delay_alu instid0(VALU_DEP_2) | instskip(NEXT) | instid1(VALU_DEP_3)
	v_add_co_u32 v2, vcc_lo, v15, v2
	v_add_co_ci_u32_e32 v3, vcc_lo, 0, v3, vcc_lo
	s_delay_alu instid0(VALU_DEP_2) | instskip(NEXT) | instid1(VALU_DEP_2)
	v_add_co_u32 v2, vcc_lo, v2, v10
	v_add_co_ci_u32_e32 v2, vcc_lo, v3, v11, vcc_lo
	v_add_co_ci_u32_e32 v3, vcc_lo, 0, v13, vcc_lo
	s_delay_alu instid0(VALU_DEP_2) | instskip(NEXT) | instid1(VALU_DEP_2)
	v_add_co_u32 v5, vcc_lo, v2, v12
	v_add_co_ci_u32_e32 v10, vcc_lo, 0, v3, vcc_lo
	s_delay_alu instid0(VALU_DEP_2) | instskip(SKIP_1) | instid1(VALU_DEP_3)
	v_mul_lo_u32 v11, s19, v5
	v_mad_u64_u32 v[2:3], null, s18, v5, 0
	v_mul_lo_u32 v12, s18, v10
	s_delay_alu instid0(VALU_DEP_2) | instskip(NEXT) | instid1(VALU_DEP_2)
	v_sub_co_u32 v2, vcc_lo, v8, v2
	v_add3_u32 v3, v3, v12, v11
	s_delay_alu instid0(VALU_DEP_1) | instskip(NEXT) | instid1(VALU_DEP_1)
	v_sub_nc_u32_e32 v11, v9, v3
	v_subrev_co_ci_u32_e64 v11, s2, s19, v11, vcc_lo
	v_add_co_u32 v12, s2, v5, 2
	s_delay_alu instid0(VALU_DEP_1) | instskip(SKIP_3) | instid1(VALU_DEP_3)
	v_add_co_ci_u32_e64 v13, s2, 0, v10, s2
	v_sub_co_u32 v14, s2, v2, s18
	v_sub_co_ci_u32_e32 v3, vcc_lo, v9, v3, vcc_lo
	v_subrev_co_ci_u32_e64 v11, s2, 0, v11, s2
	v_cmp_le_u32_e32 vcc_lo, s18, v14
	s_delay_alu instid0(VALU_DEP_3) | instskip(SKIP_1) | instid1(VALU_DEP_4)
	v_cmp_eq_u32_e64 s2, s19, v3
	v_cndmask_b32_e64 v14, 0, -1, vcc_lo
	v_cmp_le_u32_e32 vcc_lo, s19, v11
	v_cndmask_b32_e64 v15, 0, -1, vcc_lo
	v_cmp_le_u32_e32 vcc_lo, s18, v2
	;; [unrolled: 2-line block ×3, first 2 shown]
	v_cndmask_b32_e64 v16, 0, -1, vcc_lo
	v_cmp_eq_u32_e32 vcc_lo, s19, v11
	s_delay_alu instid0(VALU_DEP_2) | instskip(SKIP_3) | instid1(VALU_DEP_3)
	v_cndmask_b32_e64 v2, v16, v2, s2
	v_cndmask_b32_e32 v11, v15, v14, vcc_lo
	v_add_co_u32 v14, vcc_lo, v5, 1
	v_add_co_ci_u32_e32 v15, vcc_lo, 0, v10, vcc_lo
	v_cmp_ne_u32_e32 vcc_lo, 0, v11
	s_delay_alu instid0(VALU_DEP_2) | instskip(NEXT) | instid1(VALU_DEP_4)
	v_cndmask_b32_e32 v3, v15, v13, vcc_lo
	v_cndmask_b32_e32 v11, v14, v12, vcc_lo
	v_cmp_ne_u32_e32 vcc_lo, 0, v2
	s_delay_alu instid0(VALU_DEP_3) | instskip(NEXT) | instid1(VALU_DEP_3)
	v_cndmask_b32_e32 v3, v10, v3, vcc_lo
	v_cndmask_b32_e32 v2, v5, v11, vcc_lo
.LBB0_4:                                ;   in Loop: Header=BB0_2 Depth=1
	s_and_not1_saveexec_b32 s2, s3
	s_cbranch_execz .LBB0_6
; %bb.5:                                ;   in Loop: Header=BB0_2 Depth=1
	v_cvt_f32_u32_e32 v2, s18
	s_sub_i32 s3, 0, s18
	s_delay_alu instid0(VALU_DEP_1) | instskip(SKIP_2) | instid1(VALU_DEP_1)
	v_rcp_iflag_f32_e32 v2, v2
	s_waitcnt_depctr 0xfff
	v_mul_f32_e32 v2, 0x4f7ffffe, v2
	v_cvt_u32_f32_e32 v2, v2
	s_delay_alu instid0(VALU_DEP_1) | instskip(NEXT) | instid1(VALU_DEP_1)
	v_mul_lo_u32 v3, s3, v2
	v_mul_hi_u32 v3, v2, v3
	s_delay_alu instid0(VALU_DEP_1) | instskip(NEXT) | instid1(VALU_DEP_1)
	v_add_nc_u32_e32 v2, v2, v3
	v_mul_hi_u32 v2, v8, v2
	s_delay_alu instid0(VALU_DEP_1) | instskip(SKIP_1) | instid1(VALU_DEP_2)
	v_mul_lo_u32 v3, v2, s18
	v_add_nc_u32_e32 v5, 1, v2
	v_sub_nc_u32_e32 v3, v8, v3
	s_delay_alu instid0(VALU_DEP_1) | instskip(SKIP_1) | instid1(VALU_DEP_2)
	v_subrev_nc_u32_e32 v10, s18, v3
	v_cmp_le_u32_e32 vcc_lo, s18, v3
	v_dual_cndmask_b32 v3, v3, v10 :: v_dual_cndmask_b32 v2, v2, v5
	s_delay_alu instid0(VALU_DEP_1) | instskip(NEXT) | instid1(VALU_DEP_2)
	v_cmp_le_u32_e32 vcc_lo, s18, v3
	v_add_nc_u32_e32 v5, 1, v2
	s_delay_alu instid0(VALU_DEP_1)
	v_dual_mov_b32 v3, v1 :: v_dual_cndmask_b32 v2, v2, v5
.LBB0_6:                                ;   in Loop: Header=BB0_2 Depth=1
	s_or_b32 exec_lo, exec_lo, s2
	s_load_b64 s[2:3], s[12:13], 0x0
	s_delay_alu instid0(VALU_DEP_1) | instskip(NEXT) | instid1(VALU_DEP_2)
	v_mul_lo_u32 v5, v3, s18
	v_mul_lo_u32 v12, v2, s19
	v_mad_u64_u32 v[10:11], null, v2, s18, 0
	s_add_u32 s16, s16, 1
	s_addc_u32 s17, s17, 0
	s_add_u32 s12, s12, 8
	s_addc_u32 s13, s13, 0
	;; [unrolled: 2-line block ×3, first 2 shown]
	s_delay_alu instid0(VALU_DEP_1) | instskip(SKIP_1) | instid1(VALU_DEP_2)
	v_add3_u32 v5, v11, v12, v5
	v_sub_co_u32 v10, vcc_lo, v8, v10
	v_sub_co_ci_u32_e32 v5, vcc_lo, v9, v5, vcc_lo
	s_waitcnt lgkmcnt(0)
	s_delay_alu instid0(VALU_DEP_2) | instskip(NEXT) | instid1(VALU_DEP_2)
	v_mul_lo_u32 v11, s3, v10
	v_mul_lo_u32 v5, s2, v5
	v_mad_u64_u32 v[8:9], null, s2, v10, v[6:7]
	v_cmp_ge_u64_e64 s2, s[16:17], s[6:7]
	s_delay_alu instid0(VALU_DEP_1) | instskip(NEXT) | instid1(VALU_DEP_2)
	s_and_b32 vcc_lo, exec_lo, s2
	v_add3_u32 v7, v11, v9, v5
	s_delay_alu instid0(VALU_DEP_3)
	v_mov_b32_e32 v6, v8
	s_cbranch_vccnz .LBB0_8
; %bb.7:                                ;   in Loop: Header=BB0_2 Depth=1
	v_dual_mov_b32 v9, v3 :: v_dual_mov_b32 v8, v2
	s_branch .LBB0_2
.LBB0_8:
	s_lshl_b64 s[2:3], s[6:7], 3
	v_mul_hi_u32 v1, 0x7c1f07d, v0
	s_add_u32 s2, s10, s2
	s_addc_u32 s3, s11, s3
	v_dual_mov_b32 v12, 0 :: v_dual_mov_b32 v15, 0
	s_load_b64 s[2:3], s[2:3], 0x0
	s_load_b64 s[0:1], s[0:1], 0x20
	v_mov_b32_e32 v14, 0
                                        ; implicit-def: $vgpr13
                                        ; implicit-def: $vgpr16
                                        ; implicit-def: $vgpr11
                                        ; implicit-def: $vgpr17
	s_delay_alu instid0(VALU_DEP_3) | instskip(NEXT) | instid1(VALU_DEP_1)
	v_mul_u32_u24_e32 v1, 33, v1
	v_sub_nc_u32_e32 v0, v0, v1
                                        ; implicit-def: $vgpr1
	s_waitcnt lgkmcnt(0)
	v_mul_lo_u32 v5, s2, v3
	v_mul_lo_u32 v10, s3, v2
	v_mad_u64_u32 v[8:9], null, s2, v2, v[6:7]
	v_cmp_gt_u64_e32 vcc_lo, s[0:1], v[2:3]
                                        ; implicit-def: $vgpr7
                                        ; implicit-def: $vgpr6
	s_delay_alu instid0(VALU_DEP_2) | instskip(NEXT) | instid1(VALU_DEP_1)
	v_add3_u32 v9, v10, v9, v5
                                        ; implicit-def: $vgpr5
                                        ; implicit-def: $vgpr10
	v_lshlrev_b64 v[2:3], 2, v[8:9]
	v_mov_b32_e32 v8, 0
                                        ; implicit-def: $vgpr9
	s_and_saveexec_b32 s1, vcc_lo
	s_cbranch_execz .LBB0_10
; %bb.9:
	v_mov_b32_e32 v1, 0
	s_delay_alu instid0(VALU_DEP_1) | instskip(SKIP_1) | instid1(VALU_DEP_1)
	v_lshlrev_b64 v[5:6], 2, v[0:1]
	v_add_co_u32 v1, s0, s8, v2
	v_add_co_ci_u32_e64 v8, s0, s9, v3, s0
	s_delay_alu instid0(VALU_DEP_2) | instskip(NEXT) | instid1(VALU_DEP_1)
	v_add_co_u32 v7, s0, v1, v5
	v_add_co_ci_u32_e64 v8, s0, v8, v6, s0
	s_clause 0x8
	global_load_b32 v1, v[7:8], off
	global_load_b32 v6, v[7:8], off offset:660
	global_load_b32 v13, v[7:8], off offset:792
	;; [unrolled: 1-line block ×8, first 2 shown]
	s_waitcnt vmcnt(8)
	v_lshrrev_b32_e32 v5, 16, v1
	s_waitcnt vmcnt(7)
	v_lshrrev_b32_e32 v7, 16, v6
	;; [unrolled: 2-line block ×5, first 2 shown]
.LBB0_10:
	s_or_b32 exec_lo, exec_lo, s1
	v_mul_hi_u32 v18, 0x24924925, v4
	s_waitcnt vmcnt(3)
	v_lshrrev_b32_e32 v19, 16, v12
	v_add_f16_e32 v20, v17, v12
	v_sub_f16_e32 v12, v12, v17
	s_waitcnt vmcnt(2)
	v_lshrrev_b32_e32 v21, 16, v14
	v_add_f16_e32 v22, v16, v14
	s_waitcnt vmcnt(1)
	v_lshrrev_b32_e32 v23, 16, v15
	v_add_f16_e32 v24, v13, v15
	v_sub_nc_u32_e32 v17, v4, v18
	v_sub_f16_e32 v13, v15, v13
	s_waitcnt vmcnt(0)
	v_lshrrev_b32_e32 v15, 16, v8
	v_add_f16_e32 v26, v11, v19
	v_add_f16_e32 v27, v10, v21
	v_lshrrev_b32_e32 v17, 1, v17
	v_sub_f16_e32 v10, v21, v10
	v_add_f16_e32 v34, v20, v22
	v_add_f16_e32 v28, v9, v23
	v_sub_f16_e32 v11, v19, v11
	v_add_nc_u32_e32 v17, v17, v18
	v_sub_f16_e32 v19, v15, v7
	v_mul_f16_e32 v21, 0x3be1, v10
	v_add_f16_e32 v37, v26, v27
	v_add_f16_e32 v38, v34, v24
	v_lshrrev_b32_e32 v17, 2, v17
	v_sub_f16_e32 v14, v14, v16
	v_sub_f16_e32 v16, v8, v6
	v_add_f16_e32 v25, v6, v8
	v_sub_f16_e32 v9, v23, v9
	v_mul_lo_u32 v17, v17, 7
	v_fmac_f16_e32 v21, 0x3924, v11
	v_add_f16_e32 v39, v37, v28
	v_add_f16_e32 v8, v38, v8
	v_mul_f16_e32 v18, 0x3be1, v14
	v_add_f16_e32 v30, v7, v15
	v_fmac_f16_e32 v21, 0x3aee, v9
	v_add_f16_e32 v15, v39, v15
	v_sub_nc_u32_e32 v4, v4, v17
	v_mul_f16_e32 v17, 0xb924, v19
	v_add_f16_e32 v6, v6, v8
	v_fmamk_f16 v23, v20, 0x3a21, v1
	v_fmac_f16_e32 v18, 0x3924, v12
	v_fmac_f16_e32 v21, 0x3579, v19
	;; [unrolled: 1-line block ×3, first 2 shown]
	v_fmamk_f16 v31, v25, 0x3a21, v1
	v_add_f16_e32 v36, v11, v19
	v_add_f16_e32 v41, v1, v24
	v_mul_f16_e32 v19, 0x3be1, v19
	v_fmac_f16_e32 v17, 0xbaee, v9
	v_add_f16_e32 v7, v7, v15
	v_add_f16_e32 v15, v1, v6
	v_fmac_f16_e32 v1, 0x3a21, v22
	v_fmac_f16_e32 v18, 0x3aee, v13
	;; [unrolled: 1-line block ×4, first 2 shown]
	v_sub_f16_e32 v36, v36, v10
	v_fma_f16 v10, v10, 0xb924, -v19
	v_fmac_f16_e32 v1, 0x318f, v25
	v_fmamk_f16 v29, v26, 0x3a21, v5
	v_fmac_f16_e32 v23, 0x318f, v22
	v_fmac_f16_e32 v18, 0x3579, v16
	v_mul_f16_e32 v32, 0xb924, v16
	v_fmamk_f16 v33, v30, 0x3a21, v5
	v_fmac_f16_e32 v31, -0.5, v24
	v_add_f16_e32 v35, v12, v16
	v_add_f16_e32 v39, v5, v28
	;; [unrolled: 1-line block ×3, first 2 shown]
	v_mul_f16_e32 v16, 0x3be1, v16
	v_add_f16_e32 v19, v5, v7
	v_fmac_f16_e32 v5, 0x3a21, v27
	v_fmac_f16_e32 v10, 0x3aee, v9
	v_fmac_f16_e32 v1, -0.5, v24
	v_fmac_f16_e32 v23, -0.5, v24
	v_mul_u32_u24_e32 v4, 0x129, v4
	v_fmac_f16_e32 v31, 0xbb84, v22
	v_fmac_f16_e32 v41, -0.5, v8
	v_fma_f16 v8, v14, 0xb924, -v16
	v_fmac_f16_e32 v5, 0x318f, v30
	v_fmac_f16_e32 v10, 0x3579, v11
	;; [unrolled: 1-line block ×4, first 2 shown]
	v_add_f16_e32 v31, v17, v31
	v_mul_f16_e32 v40, 0x3aee, v36
	v_add_f16_e32 v6, v37, v30
	v_fmac_f16_e32 v8, 0x3aee, v13
	v_fmac_f16_e32 v5, -0.5, v28
	v_lshlrev_b32_e32 v9, 1, v4
	v_fmac_f16_e32 v41, 0x3aee, v36
	v_add_f16_e32 v1, v1, v10
	v_add_f16_e32 v23, v23, v21
	v_fma_f16 v17, -2.0, v17, v31
	v_fmac_f16_e32 v39, -0.5, v6
	v_fmac_f16_e32 v8, 0x3579, v12
	v_fmac_f16_e32 v5, 0xbb84, v26
	v_add_nc_u32_e32 v11, 0, v9
	v_fma_f16 v4, -2.0, v40, v41
	v_fma_f16 v6, -2.0, v10, v1
	v_fmac_f16_e32 v32, 0x3be1, v12
	v_fmac_f16_e32 v33, 0x318f, v26
	v_sub_f16_e32 v10, v5, v8
	v_mad_u32_u24 v20, v0, 18, v11
	v_pack_b32_f16 v5, v31, v41
	v_pack_b32_f16 v7, v4, v17
	;; [unrolled: 1-line block ×4, first 2 shown]
	v_fma_f16 v21, -2.0, v21, v23
	v_fmac_f16_e32 v32, 0xbaee, v13
	v_fmac_f16_e32 v33, -0.5, v28
	ds_store_b128 v20, v[4:7]
	ds_store_b16 v20, v21 offset:16
	v_add_nc_u16 v5, v0, 33
	v_lshl_add_u32 v12, v0, 1, v11
	v_and_b32_e32 v11, 0xff, v0
	v_add_nc_u16 v21, v0, 0x42
	v_fmac_f16_e32 v32, 0x3579, v14
	v_fmac_f16_e32 v33, 0xbb84, v27
	v_sub_f16_e32 v35, v35, v14
	v_and_b32_e32 v14, 0xff, v5
	v_fmac_f16_e32 v29, 0x318f, v27
	v_mul_lo_u16 v11, v11, 57
	v_and_b32_e32 v16, 0xff, v21
	v_sub_f16_e32 v33, v33, v32
	v_mul_f16_e32 v38, 0x3aee, v35
	v_fmac_f16_e32 v39, 0xbaee, v35
	v_mul_lo_u16 v22, v14, 57
	v_fmac_f16_e32 v29, -0.5, v28
	v_lshrrev_b16 v11, 9, v11
	v_mul_lo_u16 v16, v16, 57
	v_fma_f16 v13, 2.0, v32, v33
	v_fma_f16 v15, 2.0, v38, v39
	;; [unrolled: 1-line block ×3, first 2 shown]
	v_lshrrev_b16 v22, 9, v22
	v_fmac_f16_e32 v29, 0xbb84, v30
	v_mul_lo_u16 v23, v11, 9
	v_lshrrev_b16 v24, 9, v16
	v_pack_b32_f16 v16, v15, v13
	v_pack_b32_f16 v15, v10, v17
	v_mul_lo_u16 v10, v22, 9
	v_sub_f16_e32 v29, v29, v18
	v_lshlrev_b32_e32 v1, 4, v0
	v_sub_nc_u16 v17, v0, v23
	v_mul_lo_u16 v23, v24, 9
	v_sub_nc_u16 v5, v5, v10
	v_pack_b32_f16 v14, v33, v39
	v_sub_nc_u32_e32 v1, v20, v1
	v_pack_b32_f16 v13, v19, v29
	v_and_b32_e32 v10, 0xff, v17
	v_sub_nc_u16 v17, v21, v23
	v_fma_f16 v18, 2.0, v18, v29
	v_and_b32_e32 v5, 0xff, v5
	s_waitcnt lgkmcnt(0)
	s_barrier
	buffer_gl0_inv
	ds_load_u16 v6, v12
	ds_load_u16 v7, v1 offset:66
	ds_load_u16 v4, v1 offset:264
	;; [unrolled: 1-line block ×8, first 2 shown]
	s_waitcnt lgkmcnt(0)
	s_barrier
	buffer_gl0_inv
	ds_store_b128 v20, v[13:16]
	ds_store_b16 v20, v18 offset:16
	v_and_b32_e32 v15, 0xff, v17
	v_lshlrev_b32_e32 v13, 3, v10
	v_lshlrev_b32_e32 v16, 3, v5
	s_waitcnt lgkmcnt(0)
	s_barrier
	v_lshlrev_b32_e32 v18, 3, v15
	buffer_gl0_inv
	s_clause 0x2
	global_load_b64 v[13:14], v13, s[4:5]
	global_load_b64 v[16:17], v16, s[4:5]
	global_load_b64 v[20:21], v18, s[4:5]
	v_and_b32_e32 v11, 0xffff, v11
	v_and_b32_e32 v18, 0xffff, v22
	;; [unrolled: 1-line block ×3, first 2 shown]
	v_lshlrev_b32_e32 v10, 1, v10
	v_lshlrev_b32_e32 v5, 1, v5
	v_mad_u32_u24 v11, v11, 54, 0
	v_mad_u32_u24 v18, v18, 54, 0
	;; [unrolled: 1-line block ×3, first 2 shown]
	v_lshlrev_b32_e32 v15, 1, v15
	ds_load_u16 v29, v1 offset:198
	v_add3_u32 v22, v11, v10, v9
	v_add3_u32 v19, v18, v5, v9
	ds_load_u16 v18, v1 offset:396
	v_add3_u32 v15, v23, v15, v9
	ds_load_u16 v35, v1 offset:264
	ds_load_u16 v36, v1 offset:462
	ds_load_u16 v10, v12
	ds_load_u16 v9, v1 offset:66
	ds_load_u16 v37, v1 offset:330
	;; [unrolled: 1-line block ×4, first 2 shown]
	v_cmp_gt_u32_e64 s0, 27, v0
	s_waitcnt vmcnt(0) lgkmcnt(0)
	s_barrier
	buffer_gl0_inv
	v_lshrrev_b32_e32 v5, 16, v13
	v_lshrrev_b32_e32 v23, 16, v14
	;; [unrolled: 1-line block ×6, first 2 shown]
	v_mul_f16_e32 v40, v29, v5
	v_mul_f16_e32 v31, v32, v5
	;; [unrolled: 1-line block ×12, first 2 shown]
	v_fma_f16 v32, v32, v13, -v40
	v_fmac_f16_e32 v31, v29, v13
	v_fma_f16 v33, v27, v14, -v41
	v_fma_f16 v27, v4, v16, -v42
	;; [unrolled: 1-line block ×5, first 2 shown]
	v_fmac_f16_e32 v5, v18, v14
	v_fmac_f16_e32 v26, v35, v16
	;; [unrolled: 1-line block ×5, first 2 shown]
	v_add_f16_e32 v13, v32, v33
	v_add_f16_e32 v17, v27, v29
	;; [unrolled: 1-line block ×4, first 2 shown]
	v_sub_f16_e32 v16, v31, v5
	v_add_f16_e32 v14, v7, v27
	v_sub_f16_e32 v18, v26, v23
	v_add_f16_e32 v20, v8, v28
	v_sub_f16_e32 v34, v25, v24
	v_fmac_f16_e32 v6, -0.5, v13
	v_fmac_f16_e32 v7, -0.5, v17
	;; [unrolled: 1-line block ×3, first 2 shown]
	v_add_f16_e32 v4, v4, v33
	v_add_f16_e32 v13, v14, v29
	;; [unrolled: 1-line block ×3, first 2 shown]
	v_fmamk_f16 v17, v16, 0x3aee, v6
	v_fmac_f16_e32 v6, 0xbaee, v16
	v_fmamk_f16 v16, v18, 0x3aee, v7
	v_fmac_f16_e32 v7, 0xbaee, v18
	;; [unrolled: 2-line block ×3, first 2 shown]
	ds_store_b16 v22, v4
	ds_store_b16 v22, v17 offset:18
	ds_store_b16 v22, v6 offset:36
	ds_store_b16 v19, v13
	ds_store_b16 v19, v16 offset:18
	ds_store_b16 v19, v7 offset:36
	;; [unrolled: 3-line block ×3, first 2 shown]
	s_waitcnt lgkmcnt(0)
	s_barrier
	buffer_gl0_inv
                                        ; implicit-def: $vgpr21
                                        ; implicit-def: $vgpr20
	s_and_saveexec_b32 s1, s0
	s_cbranch_execz .LBB0_12
; %bb.11:
	ds_load_u16 v4, v12
	ds_load_u16 v17, v1 offset:54
	ds_load_u16 v6, v1 offset:108
	;; [unrolled: 1-line block ×10, first 2 shown]
.LBB0_12:
	s_or_b32 exec_lo, exec_lo, s1
	v_add_f16_e32 v34, v31, v5
	v_add_f16_e32 v31, v10, v31
	v_sub_f16_e32 v32, v32, v33
	v_add_f16_e32 v33, v26, v23
	v_add_f16_e32 v35, v25, v24
	v_fmac_f16_e32 v10, -0.5, v34
	v_add_f16_e32 v34, v9, v26
	v_add_f16_e32 v5, v31, v5
	v_fmac_f16_e32 v9, -0.5, v33
	v_sub_f16_e32 v29, v27, v29
	v_add_f16_e32 v31, v11, v25
	v_fmac_f16_e32 v11, -0.5, v35
	v_sub_f16_e32 v30, v28, v30
	v_fmamk_f16 v26, v32, 0xbaee, v10
	v_fmac_f16_e32 v10, 0x3aee, v32
	v_add_f16_e32 v27, v34, v23
	v_fmamk_f16 v25, v29, 0xbaee, v9
	v_fmac_f16_e32 v9, 0x3aee, v29
	v_add_f16_e32 v24, v31, v24
	v_fmamk_f16 v28, v30, 0xbaee, v11
	v_fmac_f16_e32 v11, 0x3aee, v30
	s_waitcnt lgkmcnt(0)
	s_barrier
	buffer_gl0_inv
	ds_store_b16 v22, v5
	ds_store_b16 v22, v26 offset:18
	ds_store_b16 v22, v10 offset:36
	ds_store_b16 v19, v27
	ds_store_b16 v19, v25 offset:18
	ds_store_b16 v19, v9 offset:36
	;; [unrolled: 3-line block ×3, first 2 shown]
	s_waitcnt lgkmcnt(0)
	s_barrier
	buffer_gl0_inv
                                        ; implicit-def: $vgpr30
                                        ; implicit-def: $vgpr29
	s_and_saveexec_b32 s1, s0
	s_cbranch_execnz .LBB0_15
; %bb.13:
	s_or_b32 exec_lo, exec_lo, s1
	s_and_b32 s0, vcc_lo, s0
	s_delay_alu instid0(SALU_CYCLE_1)
	s_and_saveexec_b32 s1, s0
	s_cbranch_execnz .LBB0_16
.LBB0_14:
	s_endpgm
.LBB0_15:
	ds_load_u16 v5, v12
	ds_load_u16 v26, v1 offset:54
	ds_load_u16 v10, v1 offset:108
	;; [unrolled: 1-line block ×10, first 2 shown]
	s_or_b32 exec_lo, exec_lo, s1
	s_and_b32 s0, vcc_lo, s0
	s_delay_alu instid0(SALU_CYCLE_1)
	s_and_saveexec_b32 s1, s0
	s_cbranch_execz .LBB0_14
.LBB0_16:
	v_mul_u32_u24_e32 v1, 10, v0
	v_add_co_u32 v2, vcc_lo, s8, v2
	v_add_co_ci_u32_e32 v3, vcc_lo, s9, v3, vcc_lo
	s_delay_alu instid0(VALU_DEP_3)
	v_lshlrev_b32_e32 v1, 2, v1
	s_clause 0x2
	global_load_b64 v[39:40], v1, s[4:5] offset:104
	global_load_b128 v[31:34], v1, s[4:5] offset:72
	global_load_b128 v[35:38], v1, s[4:5] offset:88
	v_mov_b32_e32 v1, 0
	s_delay_alu instid0(VALU_DEP_1) | instskip(NEXT) | instid1(VALU_DEP_1)
	v_lshlrev_b64 v[0:1], 2, v[0:1]
	v_add_co_u32 v0, vcc_lo, v2, v0
	s_delay_alu instid0(VALU_DEP_2)
	v_add_co_ci_u32_e32 v1, vcc_lo, v3, v1, vcc_lo
	s_waitcnt vmcnt(2)
	v_lshrrev_b32_e32 v41, 16, v40
	s_waitcnt vmcnt(1)
	v_lshrrev_b32_e32 v42, 16, v31
	v_lshrrev_b32_e32 v3, 16, v39
	s_waitcnt lgkmcnt(0)
	v_mul_f16_e32 v2, v30, v40
	v_lshrrev_b32_e32 v43, 16, v32
	v_lshrrev_b32_e32 v45, 16, v34
	v_mul_f16_e32 v46, v26, v31
	v_mul_f16_e32 v12, v29, v39
	s_waitcnt vmcnt(0)
	v_lshrrev_b32_e32 v51, 16, v38
	v_mul_f16_e32 v26, v26, v42
	v_mul_f16_e32 v30, v30, v41
	v_lshrrev_b32_e32 v44, 16, v33
	v_mul_f16_e32 v47, v10, v32
	v_lshrrev_b32_e32 v48, 16, v35
	v_lshrrev_b32_e32 v49, 16, v36
	;; [unrolled: 1-line block ×3, first 2 shown]
	v_mul_f16_e32 v15, v11, v38
	v_mul_f16_e32 v52, v27, v33
	;; [unrolled: 1-line block ×6, first 2 shown]
	v_fmac_f16_e32 v46, v17, v42
	v_fmac_f16_e32 v12, v20, v3
	v_mul_f16_e32 v10, v10, v43
	v_mul_f16_e32 v29, v29, v3
	;; [unrolled: 1-line block ×4, first 2 shown]
	v_fma_f16 v17, v17, v31, -v26
	v_fma_f16 v3, v21, v40, -v30
	v_fmac_f16_e32 v2, v21, v41
	v_fmac_f16_e32 v47, v6, v43
	;; [unrolled: 1-line block ×4, first 2 shown]
	v_mul_f16_e32 v27, v27, v44
	v_fmac_f16_e32 v19, v18, v50
	v_fmac_f16_e32 v53, v16, v45
	v_mul_f16_e32 v28, v28, v50
	v_fmac_f16_e32 v22, v14, v49
	v_fmac_f16_e32 v23, v7, v48
	v_mul_f16_e32 v41, v9, v48
	v_mul_f16_e32 v24, v24, v49
	v_fma_f16 v26, v6, v32, -v10
	v_fma_f16 v8, v8, v38, -v11
	;; [unrolled: 1-line block ×3, first 2 shown]
	v_add_f16_e32 v25, v5, v46
	v_sub_f16_e32 v31, v17, v3
	v_add_f16_e32 v34, v3, v17
	v_add_f16_e32 v17, v4, v17
	;; [unrolled: 1-line block ×4, first 2 shown]
	v_fma_f16 v6, v20, v39, -v29
	v_fma_f16 v13, v13, v33, -v27
	;; [unrolled: 1-line block ×5, first 2 shown]
	v_sub_f16_e32 v14, v46, v2
	v_sub_f16_e32 v16, v47, v12
	;; [unrolled: 1-line block ×5, first 2 shown]
	v_add_f16_e32 v27, v15, v52
	v_add_f16_e32 v28, v19, v53
	;; [unrolled: 1-line block ×5, first 2 shown]
	v_mul_f16_e32 v30, 0xb08e, v42
	v_mul_f16_e32 v32, 0xbbad, v21
	v_sub_f16_e32 v33, v26, v6
	v_mul_f16_e32 v35, 0xbbeb, v14
	v_add_f16_e32 v36, v6, v26
	v_mul_f16_e32 v37, 0x3482, v16
	v_add_f16_e32 v38, v8, v13
	;; [unrolled: 2-line block ×4, first 2 shown]
	v_mul_f16_e32 v44, 0xba0c, v24
	v_mul_f16_e32 v45, 0xb93d, v42
	;; [unrolled: 1-line block ×25, first 2 shown]
	v_sub_f16_e32 v47, v13, v8
	v_mul_f16_e32 v67, 0xb93d, v27
	v_mul_f16_e32 v68, 0x3abb, v27
	v_mul_f16_e32 v69, 0x36a6, v27
	v_sub_f16_e32 v70, v11, v9
	v_mul_f16_e32 v71, 0x36a6, v28
	v_mul_f16_e32 v72, 0xbbad, v28
	v_mul_f16_e32 v73, 0x3abb, v28
	;; [unrolled: 4-line block ×3, first 2 shown]
	v_add_f16_e32 v25, v25, v52
	v_add_f16_e32 v13, v17, v13
	v_fmamk_f16 v78, v31, 0x3beb, v30
	v_fmamk_f16 v79, v33, 0xb482, v32
	;; [unrolled: 1-line block ×21, first 2 shown]
	v_fmac_f16_e32 v55, 0xb482, v31
	v_fmac_f16_e32 v56, 0x3853, v33
	v_fma_f16 v57, v34, 0xbbad, -v57
	v_fma_f16 v58, v36, 0x3abb, -v58
	v_fma_f16 v59, v38, 0xb93d, -v59
	v_fma_f16 v60, v40, 0x36a6, -v60
	v_fma_f16 v61, v43, 0xb08e, -v61
	v_fmac_f16_e32 v45, 0xba0c, v31
	v_fmac_f16_e32 v46, 0x3beb, v33
	v_fma_f16 v48, v34, 0xb93d, -v48
	v_fma_f16 v49, v36, 0xb08e, -v49
	v_fma_f16 v50, v38, 0x3abb, -v50
	v_fma_f16 v51, v40, 0xbbad, -v51
	v_fma_f16 v54, v43, 0x36a6, -v54
	v_fmac_f16_e32 v30, 0xbbeb, v31
	v_fmac_f16_e32 v32, 0x3482, v33
	v_fma_f16 v35, v34, 0xb08e, -v35
	v_fma_f16 v37, v36, 0xbbad, -v37
	v_fma_f16 v39, v38, 0x36a6, -v39
	v_fma_f16 v41, v40, 0x3abb, -v41
	v_fma_f16 v44, v43, 0xb93d, -v44
	v_mul_f16_e32 v99, 0xbb47, v31
	v_mul_f16_e32 v100, 0xba0c, v33
	v_fma_f16 v101, v34, 0x36a6, -v62
	v_fma_f16 v102, v36, 0xb93d, -v63
	;; [unrolled: 1-line block ×5, first 2 shown]
	v_mul_f16_e32 v31, 0xb853, v31
	v_mul_f16_e32 v33, 0xbb47, v33
	v_fma_f16 v106, v34, 0x3abb, -v14
	v_fma_f16 v26, v36, 0x36a6, -v16
	v_fmac_f16_e32 v62, 0x36a6, v34
	v_fmac_f16_e32 v14, 0x3abb, v34
	v_fma_f16 v34, v38, 0xb08e, -v18
	v_fmac_f16_e32 v63, 0xb93d, v36
	v_fmac_f16_e32 v16, 0x36a6, v36
	;; [unrolled: 3-line block ×4, first 2 shown]
	v_fmac_f16_e32 v20, 0xb93d, v40
	v_fmac_f16_e32 v24, 0xbbad, v43
	v_fmamk_f16 v40, v47, 0x3a0c, v67
	v_fmac_f16_e32 v67, 0xba0c, v47
	v_fmamk_f16 v43, v47, 0x3853, v68
	;; [unrolled: 2-line block ×3, first 2 shown]
	v_fmac_f16_e32 v69, 0x3b47, v47
	v_mul_f16_e32 v107, 0x3482, v47
	v_mul_f16_e32 v47, 0xbbeb, v47
	v_fmamk_f16 v108, v70, 0xbb47, v71
	v_fmac_f16_e32 v71, 0x3b47, v70
	v_fmamk_f16 v109, v70, 0x3482, v72
	v_fmac_f16_e32 v72, 0xb482, v70
	v_fmamk_f16 v110, v70, 0x3853, v73
	v_mul_f16_e32 v111, 0x3beb, v70
	v_fmac_f16_e32 v73, 0xb853, v70
	v_mul_f16_e32 v70, 0xba0c, v70
	v_fmamk_f16 v112, v74, 0x3beb, v75
	v_fmac_f16_e32 v75, 0xbbeb, v74
	v_fmamk_f16 v113, v74, 0xbb47, v76
	v_fmac_f16_e32 v76, 0x3b47, v74
	;; [unrolled: 2-line block ×3, first 2 shown]
	v_mul_f16_e32 v115, 0x3853, v74
	v_mul_f16_e32 v74, 0xb482, v74
	v_add_f16_e32 v25, v25, v53
	v_add_f16_e32 v11, v13, v11
	v_fmamk_f16 v116, v42, 0x36a6, v99
	v_fmamk_f16 v117, v42, 0x3abb, v31
	v_fma_f16 v99, v42, 0x36a6, -v99
	v_fma_f16 v31, v42, 0x3abb, -v31
	v_fmamk_f16 v42, v21, 0xb93d, v100
	v_fma_f16 v100, v21, 0xb93d, -v100
	v_fmamk_f16 v118, v21, 0x36a6, v33
	;; [unrolled: 2-line block ×8, first 2 shown]
	v_fma_f16 v29, v29, 0xbbad, -v74
	v_add_f16_e32 v74, v4, v80
	v_add_f16_e32 v80, v4, v87
	;; [unrolled: 1-line block ×110, first 2 shown]
	v_pack_b32_f16 v15, v31, v27
	v_add_f16_e32 v2, v2, v9
	v_add_f16_e32 v3, v3, v6
	v_pack_b32_f16 v17, v23, v22
	v_pack_b32_f16 v7, v21, v20
	;; [unrolled: 1-line block ×10, first 2 shown]
	s_clause 0xa
	global_store_b32 v[0:1], v15, off offset:432
	global_store_b32 v[0:1], v17, off offset:540
	;; [unrolled: 1-line block ×7, first 2 shown]
	global_store_b32 v[0:1], v2, off
	global_store_b32 v[0:1], v14, off offset:864
	global_store_b32 v[0:1], v9, off offset:972
	;; [unrolled: 1-line block ×3, first 2 shown]
	s_nop 0
	s_sendmsg sendmsg(MSG_DEALLOC_VGPRS)
	s_endpgm
	.section	.rodata,"a",@progbits
	.p2align	6, 0x0
	.amdhsa_kernel fft_rtc_fwd_len297_factors_9_3_11_wgs_231_tpt_33_halfLds_half_ip_CI_unitstride_sbrr_dirReg
		.amdhsa_group_segment_fixed_size 0
		.amdhsa_private_segment_fixed_size 0
		.amdhsa_kernarg_size 88
		.amdhsa_user_sgpr_count 15
		.amdhsa_user_sgpr_dispatch_ptr 0
		.amdhsa_user_sgpr_queue_ptr 0
		.amdhsa_user_sgpr_kernarg_segment_ptr 1
		.amdhsa_user_sgpr_dispatch_id 0
		.amdhsa_user_sgpr_private_segment_size 0
		.amdhsa_wavefront_size32 1
		.amdhsa_uses_dynamic_stack 0
		.amdhsa_enable_private_segment 0
		.amdhsa_system_sgpr_workgroup_id_x 1
		.amdhsa_system_sgpr_workgroup_id_y 0
		.amdhsa_system_sgpr_workgroup_id_z 0
		.amdhsa_system_sgpr_workgroup_info 0
		.amdhsa_system_vgpr_workitem_id 0
		.amdhsa_next_free_vgpr 120
		.amdhsa_next_free_sgpr 21
		.amdhsa_reserve_vcc 1
		.amdhsa_float_round_mode_32 0
		.amdhsa_float_round_mode_16_64 0
		.amdhsa_float_denorm_mode_32 3
		.amdhsa_float_denorm_mode_16_64 3
		.amdhsa_dx10_clamp 1
		.amdhsa_ieee_mode 1
		.amdhsa_fp16_overflow 0
		.amdhsa_workgroup_processor_mode 1
		.amdhsa_memory_ordered 1
		.amdhsa_forward_progress 0
		.amdhsa_shared_vgpr_count 0
		.amdhsa_exception_fp_ieee_invalid_op 0
		.amdhsa_exception_fp_denorm_src 0
		.amdhsa_exception_fp_ieee_div_zero 0
		.amdhsa_exception_fp_ieee_overflow 0
		.amdhsa_exception_fp_ieee_underflow 0
		.amdhsa_exception_fp_ieee_inexact 0
		.amdhsa_exception_int_div_zero 0
	.end_amdhsa_kernel
	.text
.Lfunc_end0:
	.size	fft_rtc_fwd_len297_factors_9_3_11_wgs_231_tpt_33_halfLds_half_ip_CI_unitstride_sbrr_dirReg, .Lfunc_end0-fft_rtc_fwd_len297_factors_9_3_11_wgs_231_tpt_33_halfLds_half_ip_CI_unitstride_sbrr_dirReg
                                        ; -- End function
	.section	.AMDGPU.csdata,"",@progbits
; Kernel info:
; codeLenInByte = 6108
; NumSgprs: 23
; NumVgprs: 120
; ScratchSize: 0
; MemoryBound: 0
; FloatMode: 240
; IeeeMode: 1
; LDSByteSize: 0 bytes/workgroup (compile time only)
; SGPRBlocks: 2
; VGPRBlocks: 14
; NumSGPRsForWavesPerEU: 23
; NumVGPRsForWavesPerEU: 120
; Occupancy: 12
; WaveLimiterHint : 1
; COMPUTE_PGM_RSRC2:SCRATCH_EN: 0
; COMPUTE_PGM_RSRC2:USER_SGPR: 15
; COMPUTE_PGM_RSRC2:TRAP_HANDLER: 0
; COMPUTE_PGM_RSRC2:TGID_X_EN: 1
; COMPUTE_PGM_RSRC2:TGID_Y_EN: 0
; COMPUTE_PGM_RSRC2:TGID_Z_EN: 0
; COMPUTE_PGM_RSRC2:TIDIG_COMP_CNT: 0
	.text
	.p2alignl 7, 3214868480
	.fill 96, 4, 3214868480
	.type	__hip_cuid_d555f8b8752a539a,@object ; @__hip_cuid_d555f8b8752a539a
	.section	.bss,"aw",@nobits
	.globl	__hip_cuid_d555f8b8752a539a
__hip_cuid_d555f8b8752a539a:
	.byte	0                               ; 0x0
	.size	__hip_cuid_d555f8b8752a539a, 1

	.ident	"AMD clang version 19.0.0git (https://github.com/RadeonOpenCompute/llvm-project roc-6.4.0 25133 c7fe45cf4b819c5991fe208aaa96edf142730f1d)"
	.section	".note.GNU-stack","",@progbits
	.addrsig
	.addrsig_sym __hip_cuid_d555f8b8752a539a
	.amdgpu_metadata
---
amdhsa.kernels:
  - .args:
      - .actual_access:  read_only
        .address_space:  global
        .offset:         0
        .size:           8
        .value_kind:     global_buffer
      - .offset:         8
        .size:           8
        .value_kind:     by_value
      - .actual_access:  read_only
        .address_space:  global
        .offset:         16
        .size:           8
        .value_kind:     global_buffer
      - .actual_access:  read_only
        .address_space:  global
        .offset:         24
        .size:           8
        .value_kind:     global_buffer
      - .offset:         32
        .size:           8
        .value_kind:     by_value
      - .actual_access:  read_only
        .address_space:  global
        .offset:         40
        .size:           8
        .value_kind:     global_buffer
      - .actual_access:  read_only
        .address_space:  global
        .offset:         48
        .size:           8
        .value_kind:     global_buffer
      - .offset:         56
        .size:           4
        .value_kind:     by_value
      - .actual_access:  read_only
        .address_space:  global
        .offset:         64
        .size:           8
        .value_kind:     global_buffer
      - .actual_access:  read_only
        .address_space:  global
        .offset:         72
        .size:           8
        .value_kind:     global_buffer
      - .address_space:  global
        .offset:         80
        .size:           8
        .value_kind:     global_buffer
    .group_segment_fixed_size: 0
    .kernarg_segment_align: 8
    .kernarg_segment_size: 88
    .language:       OpenCL C
    .language_version:
      - 2
      - 0
    .max_flat_workgroup_size: 231
    .name:           fft_rtc_fwd_len297_factors_9_3_11_wgs_231_tpt_33_halfLds_half_ip_CI_unitstride_sbrr_dirReg
    .private_segment_fixed_size: 0
    .sgpr_count:     23
    .sgpr_spill_count: 0
    .symbol:         fft_rtc_fwd_len297_factors_9_3_11_wgs_231_tpt_33_halfLds_half_ip_CI_unitstride_sbrr_dirReg.kd
    .uniform_work_group_size: 1
    .uses_dynamic_stack: false
    .vgpr_count:     120
    .vgpr_spill_count: 0
    .wavefront_size: 32
    .workgroup_processor_mode: 1
amdhsa.target:   amdgcn-amd-amdhsa--gfx1100
amdhsa.version:
  - 1
  - 2
...

	.end_amdgpu_metadata
